;; amdgpu-corpus repo=ROCm/rocFFT kind=compiled arch=gfx1030 opt=O3
	.text
	.amdgcn_target "amdgcn-amd-amdhsa--gfx1030"
	.amdhsa_code_object_version 6
	.protected	fft_rtc_back_len1000_factors_10_10_10_wgs_100_tpt_100_halfLds_sp_op_CI_CI_unitstride_sbrr_C2R_dirReg ; -- Begin function fft_rtc_back_len1000_factors_10_10_10_wgs_100_tpt_100_halfLds_sp_op_CI_CI_unitstride_sbrr_C2R_dirReg
	.globl	fft_rtc_back_len1000_factors_10_10_10_wgs_100_tpt_100_halfLds_sp_op_CI_CI_unitstride_sbrr_C2R_dirReg
	.p2align	8
	.type	fft_rtc_back_len1000_factors_10_10_10_wgs_100_tpt_100_halfLds_sp_op_CI_CI_unitstride_sbrr_C2R_dirReg,@function
fft_rtc_back_len1000_factors_10_10_10_wgs_100_tpt_100_halfLds_sp_op_CI_CI_unitstride_sbrr_C2R_dirReg: ; @fft_rtc_back_len1000_factors_10_10_10_wgs_100_tpt_100_halfLds_sp_op_CI_CI_unitstride_sbrr_C2R_dirReg
; %bb.0:
	s_clause 0x2
	s_load_dwordx4 s[12:15], s[4:5], 0x0
	s_load_dwordx4 s[8:11], s[4:5], 0x58
	;; [unrolled: 1-line block ×3, first 2 shown]
	v_mul_u32_u24_e32 v1, 0x290, v0
	v_mov_b32_e32 v8, 0
	v_mov_b32_e32 v6, 0
	;; [unrolled: 1-line block ×3, first 2 shown]
	v_add_nc_u32_sdwa v10, s6, v1 dst_sel:DWORD dst_unused:UNUSED_PAD src0_sel:DWORD src1_sel:WORD_1
	v_mov_b32_e32 v11, v8
	s_waitcnt lgkmcnt(0)
	v_cmp_lt_u64_e64 s0, s[14:15], 2
	s_and_b32 vcc_lo, exec_lo, s0
	s_cbranch_vccnz .LBB0_8
; %bb.1:
	s_load_dwordx2 s[0:1], s[4:5], 0x10
	v_mov_b32_e32 v6, 0
	v_mov_b32_e32 v7, 0
	s_add_u32 s2, s18, 8
	s_addc_u32 s3, s19, 0
	v_mov_b32_e32 v1, v6
	s_add_u32 s6, s16, 8
	v_mov_b32_e32 v2, v7
	s_addc_u32 s7, s17, 0
	s_mov_b64 s[22:23], 1
	s_waitcnt lgkmcnt(0)
	s_add_u32 s20, s0, 8
	s_addc_u32 s21, s1, 0
.LBB0_2:                                ; =>This Inner Loop Header: Depth=1
	s_load_dwordx2 s[24:25], s[20:21], 0x0
                                        ; implicit-def: $vgpr3_vgpr4
	s_mov_b32 s0, exec_lo
	s_waitcnt lgkmcnt(0)
	v_or_b32_e32 v9, s25, v11
	v_cmpx_ne_u64_e32 0, v[8:9]
	s_xor_b32 s1, exec_lo, s0
	s_cbranch_execz .LBB0_4
; %bb.3:                                ;   in Loop: Header=BB0_2 Depth=1
	v_cvt_f32_u32_e32 v3, s24
	v_cvt_f32_u32_e32 v4, s25
	s_sub_u32 s0, 0, s24
	s_subb_u32 s26, 0, s25
	v_fmac_f32_e32 v3, 0x4f800000, v4
	v_rcp_f32_e32 v3, v3
	v_mul_f32_e32 v3, 0x5f7ffffc, v3
	v_mul_f32_e32 v4, 0x2f800000, v3
	v_trunc_f32_e32 v4, v4
	v_fmac_f32_e32 v3, 0xcf800000, v4
	v_cvt_u32_f32_e32 v4, v4
	v_cvt_u32_f32_e32 v3, v3
	v_mul_lo_u32 v5, s0, v4
	v_mul_hi_u32 v9, s0, v3
	v_mul_lo_u32 v12, s26, v3
	v_add_nc_u32_e32 v5, v9, v5
	v_mul_lo_u32 v9, s0, v3
	v_add_nc_u32_e32 v5, v5, v12
	v_mul_hi_u32 v12, v3, v9
	v_mul_lo_u32 v13, v3, v5
	v_mul_hi_u32 v14, v3, v5
	v_mul_hi_u32 v15, v4, v9
	v_mul_lo_u32 v9, v4, v9
	v_mul_hi_u32 v16, v4, v5
	v_mul_lo_u32 v5, v4, v5
	v_add_co_u32 v12, vcc_lo, v12, v13
	v_add_co_ci_u32_e32 v13, vcc_lo, 0, v14, vcc_lo
	v_add_co_u32 v9, vcc_lo, v12, v9
	v_add_co_ci_u32_e32 v9, vcc_lo, v13, v15, vcc_lo
	v_add_co_ci_u32_e32 v12, vcc_lo, 0, v16, vcc_lo
	v_add_co_u32 v5, vcc_lo, v9, v5
	v_add_co_ci_u32_e32 v9, vcc_lo, 0, v12, vcc_lo
	v_add_co_u32 v3, vcc_lo, v3, v5
	v_add_co_ci_u32_e32 v4, vcc_lo, v4, v9, vcc_lo
	v_mul_hi_u32 v5, s0, v3
	v_mul_lo_u32 v12, s26, v3
	v_mul_lo_u32 v9, s0, v4
	v_add_nc_u32_e32 v5, v5, v9
	v_mul_lo_u32 v9, s0, v3
	v_add_nc_u32_e32 v5, v5, v12
	v_mul_hi_u32 v12, v3, v9
	v_mul_lo_u32 v13, v3, v5
	v_mul_hi_u32 v14, v3, v5
	v_mul_hi_u32 v15, v4, v9
	v_mul_lo_u32 v9, v4, v9
	v_mul_hi_u32 v16, v4, v5
	v_mul_lo_u32 v5, v4, v5
	v_add_co_u32 v12, vcc_lo, v12, v13
	v_add_co_ci_u32_e32 v13, vcc_lo, 0, v14, vcc_lo
	v_add_co_u32 v9, vcc_lo, v12, v9
	v_add_co_ci_u32_e32 v9, vcc_lo, v13, v15, vcc_lo
	v_add_co_ci_u32_e32 v12, vcc_lo, 0, v16, vcc_lo
	v_add_co_u32 v5, vcc_lo, v9, v5
	v_add_co_ci_u32_e32 v9, vcc_lo, 0, v12, vcc_lo
	v_add_co_u32 v5, vcc_lo, v3, v5
	v_add_co_ci_u32_e32 v9, vcc_lo, v4, v9, vcc_lo
	v_mul_hi_u32 v16, v10, v5
	v_mad_u64_u32 v[12:13], null, v11, v5, 0
	v_mad_u64_u32 v[3:4], null, v10, v9, 0
	;; [unrolled: 1-line block ×3, first 2 shown]
	v_add_co_u32 v3, vcc_lo, v16, v3
	v_add_co_ci_u32_e32 v4, vcc_lo, 0, v4, vcc_lo
	v_add_co_u32 v3, vcc_lo, v3, v12
	v_add_co_ci_u32_e32 v3, vcc_lo, v4, v13, vcc_lo
	v_add_co_ci_u32_e32 v4, vcc_lo, 0, v15, vcc_lo
	v_add_co_u32 v5, vcc_lo, v3, v14
	v_add_co_ci_u32_e32 v9, vcc_lo, 0, v4, vcc_lo
	v_mul_lo_u32 v12, s25, v5
	v_mad_u64_u32 v[3:4], null, s24, v5, 0
	v_mul_lo_u32 v13, s24, v9
	v_sub_co_u32 v3, vcc_lo, v10, v3
	v_add3_u32 v4, v4, v13, v12
	v_sub_nc_u32_e32 v12, v11, v4
	v_subrev_co_ci_u32_e64 v12, s0, s25, v12, vcc_lo
	v_add_co_u32 v13, s0, v5, 2
	v_add_co_ci_u32_e64 v14, s0, 0, v9, s0
	v_sub_co_u32 v15, s0, v3, s24
	v_sub_co_ci_u32_e32 v4, vcc_lo, v11, v4, vcc_lo
	v_subrev_co_ci_u32_e64 v12, s0, 0, v12, s0
	v_cmp_le_u32_e32 vcc_lo, s24, v15
	v_cmp_eq_u32_e64 s0, s25, v4
	v_cndmask_b32_e64 v15, 0, -1, vcc_lo
	v_cmp_le_u32_e32 vcc_lo, s25, v12
	v_cndmask_b32_e64 v16, 0, -1, vcc_lo
	v_cmp_le_u32_e32 vcc_lo, s24, v3
	;; [unrolled: 2-line block ×3, first 2 shown]
	v_cndmask_b32_e64 v17, 0, -1, vcc_lo
	v_cmp_eq_u32_e32 vcc_lo, s25, v12
	v_cndmask_b32_e64 v3, v17, v3, s0
	v_cndmask_b32_e32 v12, v16, v15, vcc_lo
	v_add_co_u32 v15, vcc_lo, v5, 1
	v_add_co_ci_u32_e32 v16, vcc_lo, 0, v9, vcc_lo
	v_cmp_ne_u32_e32 vcc_lo, 0, v12
	v_cndmask_b32_e32 v4, v16, v14, vcc_lo
	v_cndmask_b32_e32 v12, v15, v13, vcc_lo
	v_cmp_ne_u32_e32 vcc_lo, 0, v3
	v_cndmask_b32_e32 v4, v9, v4, vcc_lo
	v_cndmask_b32_e32 v3, v5, v12, vcc_lo
.LBB0_4:                                ;   in Loop: Header=BB0_2 Depth=1
	s_andn2_saveexec_b32 s0, s1
	s_cbranch_execz .LBB0_6
; %bb.5:                                ;   in Loop: Header=BB0_2 Depth=1
	v_cvt_f32_u32_e32 v3, s24
	s_sub_i32 s1, 0, s24
	v_rcp_iflag_f32_e32 v3, v3
	v_mul_f32_e32 v3, 0x4f7ffffe, v3
	v_cvt_u32_f32_e32 v3, v3
	v_mul_lo_u32 v4, s1, v3
	v_mul_hi_u32 v4, v3, v4
	v_add_nc_u32_e32 v3, v3, v4
	v_mul_hi_u32 v3, v10, v3
	v_mul_lo_u32 v4, v3, s24
	v_add_nc_u32_e32 v5, 1, v3
	v_sub_nc_u32_e32 v4, v10, v4
	v_subrev_nc_u32_e32 v9, s24, v4
	v_cmp_le_u32_e32 vcc_lo, s24, v4
	v_cndmask_b32_e32 v4, v4, v9, vcc_lo
	v_cndmask_b32_e32 v3, v3, v5, vcc_lo
	v_cmp_le_u32_e32 vcc_lo, s24, v4
	v_add_nc_u32_e32 v5, 1, v3
	v_mov_b32_e32 v4, v8
	v_cndmask_b32_e32 v3, v3, v5, vcc_lo
.LBB0_6:                                ;   in Loop: Header=BB0_2 Depth=1
	s_or_b32 exec_lo, exec_lo, s0
	v_mul_lo_u32 v5, v4, s24
	v_mul_lo_u32 v9, v3, s25
	s_load_dwordx2 s[0:1], s[6:7], 0x0
	v_mad_u64_u32 v[12:13], null, v3, s24, 0
	s_load_dwordx2 s[24:25], s[2:3], 0x0
	s_add_u32 s22, s22, 1
	s_addc_u32 s23, s23, 0
	s_add_u32 s2, s2, 8
	s_addc_u32 s3, s3, 0
	s_add_u32 s6, s6, 8
	v_add3_u32 v5, v13, v9, v5
	v_sub_co_u32 v9, vcc_lo, v10, v12
	s_addc_u32 s7, s7, 0
	s_add_u32 s20, s20, 8
	v_sub_co_ci_u32_e32 v5, vcc_lo, v11, v5, vcc_lo
	s_addc_u32 s21, s21, 0
	s_waitcnt lgkmcnt(0)
	v_mul_lo_u32 v10, s0, v5
	v_mul_lo_u32 v11, s1, v9
	v_mad_u64_u32 v[6:7], null, s0, v9, v[6:7]
	v_mul_lo_u32 v5, s24, v5
	v_mul_lo_u32 v12, s25, v9
	v_mad_u64_u32 v[1:2], null, s24, v9, v[1:2]
	v_cmp_ge_u64_e64 s0, s[22:23], s[14:15]
	v_add3_u32 v7, v11, v7, v10
	v_add3_u32 v2, v12, v2, v5
	s_and_b32 vcc_lo, exec_lo, s0
	s_cbranch_vccnz .LBB0_9
; %bb.7:                                ;   in Loop: Header=BB0_2 Depth=1
	v_mov_b32_e32 v11, v4
	v_mov_b32_e32 v10, v3
	s_branch .LBB0_2
.LBB0_8:
	v_mov_b32_e32 v1, v6
	v_mov_b32_e32 v3, v10
	;; [unrolled: 1-line block ×4, first 2 shown]
.LBB0_9:
	s_load_dwordx2 s[0:1], s[4:5], 0x28
	v_mul_hi_u32 v8, 0x28f5c29, v0
	s_lshl_b64 s[4:5], s[14:15], 3
                                        ; implicit-def: $vgpr5
	s_add_u32 s2, s18, s4
	s_addc_u32 s3, s19, s5
	s_waitcnt lgkmcnt(0)
	v_cmp_gt_u64_e32 vcc_lo, s[0:1], v[3:4]
	v_cmp_le_u64_e64 s0, s[0:1], v[3:4]
	s_and_saveexec_b32 s1, s0
	s_xor_b32 s0, exec_lo, s1
; %bb.10:
	v_mul_u32_u24_e32 v5, 0x64, v8
                                        ; implicit-def: $vgpr8
                                        ; implicit-def: $vgpr6_vgpr7
	v_sub_nc_u32_e32 v5, v0, v5
                                        ; implicit-def: $vgpr0
; %bb.11:
	s_or_saveexec_b32 s1, s0
	s_load_dwordx2 s[2:3], s[2:3], 0x0
	s_xor_b32 exec_lo, exec_lo, s1
	s_cbranch_execz .LBB0_15
; %bb.12:
	s_add_u32 s4, s16, s4
	s_addc_u32 s5, s17, s5
	v_lshlrev_b64 v[6:7], 3, v[6:7]
	s_load_dwordx2 s[4:5], s[4:5], 0x0
	s_waitcnt lgkmcnt(0)
	v_mul_lo_u32 v5, s5, v3
	v_mul_lo_u32 v11, s4, v4
	v_mad_u64_u32 v[9:10], null, s4, v3, 0
	s_mov_b32 s4, exec_lo
	v_add3_u32 v10, v10, v11, v5
	v_mul_u32_u24_e32 v5, 0x64, v8
	v_lshlrev_b64 v[8:9], 3, v[9:10]
	v_sub_nc_u32_e32 v5, v0, v5
	v_lshlrev_b32_e32 v27, 3, v5
	v_add_co_u32 v0, s0, s8, v8
	v_add_co_ci_u32_e64 v8, s0, s9, v9, s0
	v_add_co_u32 v0, s0, v0, v6
	v_add_co_ci_u32_e64 v6, s0, v8, v7, s0
	;; [unrolled: 2-line block ×3, first 2 shown]
	v_add_nc_u32_e32 v27, 0, v27
	v_add_co_u32 v9, s0, 0x800, v7
	v_add_co_ci_u32_e64 v10, s0, 0, v8, s0
	v_add_co_u32 v11, s0, 0x1000, v7
	v_add_co_ci_u32_e64 v12, s0, 0, v8, s0
	;; [unrolled: 2-line block ×3, first 2 shown]
	s_clause 0x9
	global_load_dwordx2 v[15:16], v[7:8], off
	global_load_dwordx2 v[17:18], v[7:8], off offset:800
	global_load_dwordx2 v[7:8], v[7:8], off offset:1600
	;; [unrolled: 1-line block ×9, first 2 shown]
	v_add_nc_u32_e32 v28, 0x400, v27
	v_add_nc_u32_e32 v29, 0x800, v27
	;; [unrolled: 1-line block ×4, first 2 shown]
	s_waitcnt vmcnt(8)
	ds_write2_b64 v27, v[15:16], v[17:18] offset1:100
	s_waitcnt vmcnt(6)
	ds_write2_b64 v28, v[7:8], v[19:20] offset0:72 offset1:172
	s_waitcnt vmcnt(4)
	ds_write2_b64 v29, v[21:22], v[9:10] offset0:144 offset1:244
	;; [unrolled: 2-line block ×4, first 2 shown]
	v_cmpx_eq_u32_e32 0x63, v5
	s_cbranch_execz .LBB0_14
; %bb.13:
	v_add_co_u32 v5, s0, 0x1800, v0
	v_add_co_ci_u32_e64 v6, s0, 0, v6, s0
	v_mov_b32_e32 v0, 0
	global_load_dwordx2 v[6:7], v[5:6], off offset:1856
	v_mov_b32_e32 v5, 0x63
	s_waitcnt vmcnt(0)
	ds_write_b64 v0, v[6:7] offset:8000
.LBB0_14:
	s_or_b32 exec_lo, exec_lo, s4
.LBB0_15:
	s_or_b32 exec_lo, exec_lo, s1
	v_lshlrev_b32_e32 v6, 3, v5
	s_waitcnt lgkmcnt(0)
	s_barrier
	buffer_gl0_inv
	s_add_u32 s1, s12, 0x1ef0
	v_add_nc_u32_e32 v0, 0, v6
	v_sub_nc_u32_e32 v11, 0, v6
	s_addc_u32 s4, s13, 0
	s_mov_b32 s5, exec_lo
                                        ; implicit-def: $vgpr9_vgpr10
	ds_read_b32 v12, v0
	ds_read_b32 v13, v11 offset:8000
	s_waitcnt lgkmcnt(0)
	v_add_f32_e32 v7, v13, v12
	v_sub_f32_e32 v8, v12, v13
	v_cmpx_ne_u32_e32 0, v5
	s_xor_b32 s5, exec_lo, s5
	s_cbranch_execz .LBB0_17
; %bb.16:
	v_mov_b32_e32 v6, 0
	v_add_f32_e32 v14, v13, v12
	v_sub_f32_e32 v15, v12, v13
	v_lshlrev_b64 v[7:8], 3, v[5:6]
	v_add_co_u32 v7, s0, s1, v7
	v_add_co_ci_u32_e64 v8, s0, s4, v8, s0
	global_load_dwordx2 v[9:10], v[7:8], off
	ds_read_b32 v7, v11 offset:8004
	ds_read_b32 v8, v0 offset:4
	s_waitcnt lgkmcnt(0)
	v_add_f32_e32 v16, v7, v8
	v_sub_f32_e32 v7, v8, v7
	s_waitcnt vmcnt(0)
	v_fma_f32 v12, -v15, v10, v14
	v_fma_f32 v13, v16, v10, -v7
	v_fma_f32 v17, v15, v10, v14
	v_fma_f32 v8, v16, v10, v7
	v_fmac_f32_e32 v12, v9, v16
	v_fmac_f32_e32 v13, v15, v9
	v_fma_f32 v7, -v9, v16, v17
	v_fmac_f32_e32 v8, v15, v9
	v_mov_b32_e32 v10, v6
	v_mov_b32_e32 v9, v5
	ds_write_b64 v11, v[12:13] offset:8000
.LBB0_17:
	s_andn2_saveexec_b32 s0, s5
	s_cbranch_execz .LBB0_19
; %bb.18:
	v_mov_b32_e32 v6, 0
	ds_read_b64 v[9:10], v6 offset:4000
	s_waitcnt lgkmcnt(0)
	v_add_f32_e32 v12, v9, v9
	v_mul_f32_e32 v13, -2.0, v10
	v_mov_b32_e32 v9, 0
	v_mov_b32_e32 v10, 0
	ds_write_b64 v6, v[12:13] offset:4000
.LBB0_19:
	s_or_b32 exec_lo, exec_lo, s0
	v_lshlrev_b64 v[9:10], 3, v[9:10]
	v_mov_b32_e32 v31, 9
	v_add_co_u32 v9, s0, s1, v9
	v_add_co_ci_u32_e64 v10, s0, s4, v10, s0
	s_clause 0x1
	global_load_dwordx2 v[12:13], v[9:10], off offset:800
	global_load_dwordx2 v[14:15], v[9:10], off offset:1600
	v_add_co_u32 v9, s0, 0x800, v9
	v_add_co_ci_u32_e64 v10, s0, 0, v10, s0
	s_clause 0x1
	global_load_dwordx2 v[16:17], v[9:10], off offset:352
	global_load_dwordx2 v[9:10], v[9:10], off offset:1152
	ds_write_b64 v0, v[7:8]
	ds_read_b64 v[6:7], v0 offset:800
	ds_read_b64 v[18:19], v11 offset:7200
	s_waitcnt lgkmcnt(0)
	v_add_f32_e32 v8, v6, v18
	v_add_f32_e32 v20, v19, v7
	v_sub_f32_e32 v21, v6, v18
	v_sub_f32_e32 v6, v7, v19
	s_waitcnt vmcnt(3)
	v_fma_f32 v22, v21, v13, v8
	v_fma_f32 v7, v20, v13, v6
	v_fma_f32 v18, -v21, v13, v8
	v_fma_f32 v19, v20, v13, -v6
	v_fma_f32 v6, -v12, v20, v22
	v_fmac_f32_e32 v7, v21, v12
	v_fmac_f32_e32 v18, v12, v20
	;; [unrolled: 1-line block ×3, first 2 shown]
	ds_write_b64 v0, v[6:7] offset:800
	ds_write_b64 v11, v[18:19] offset:7200
	ds_read_b64 v[6:7], v0 offset:1600
	ds_read_b64 v[12:13], v11 offset:6400
	s_waitcnt lgkmcnt(0)
	v_add_f32_e32 v8, v6, v12
	v_add_f32_e32 v18, v13, v7
	v_sub_f32_e32 v19, v6, v12
	v_sub_f32_e32 v6, v7, v13
	s_waitcnt vmcnt(2)
	v_fma_f32 v20, v19, v15, v8
	v_fma_f32 v7, v18, v15, v6
	v_fma_f32 v12, -v19, v15, v8
	v_fma_f32 v13, v18, v15, -v6
	v_fma_f32 v6, -v14, v18, v20
	v_fmac_f32_e32 v7, v19, v14
	v_fmac_f32_e32 v12, v14, v18
	;; [unrolled: 1-line block ×3, first 2 shown]
	ds_write_b64 v0, v[6:7] offset:1600
	ds_write_b64 v11, v[12:13] offset:6400
	ds_read_b64 v[6:7], v0 offset:2400
	ds_read_b64 v[12:13], v11 offset:5600
	s_waitcnt lgkmcnt(0)
	v_add_f32_e32 v8, v6, v12
	v_add_f32_e32 v14, v13, v7
	v_sub_f32_e32 v15, v6, v12
	v_sub_f32_e32 v6, v7, v13
	s_waitcnt vmcnt(1)
	v_fma_f32 v18, v15, v17, v8
	v_fma_f32 v7, v14, v17, v6
	v_fma_f32 v12, -v15, v17, v8
	v_fma_f32 v13, v14, v17, -v6
	v_add_nc_u32_e32 v8, 0x400, v0
	v_fma_f32 v6, -v16, v14, v18
	v_fmac_f32_e32 v7, v15, v16
	v_fmac_f32_e32 v12, v16, v14
	;; [unrolled: 1-line block ×3, first 2 shown]
	ds_write_b64 v0, v[6:7] offset:2400
	ds_write_b64 v11, v[12:13] offset:5600
	ds_read_b64 v[6:7], v0 offset:3200
	ds_read_b64 v[12:13], v11 offset:4800
	v_and_b32_e32 v14, 0xff, v5
	s_waitcnt lgkmcnt(0)
	v_add_f32_e32 v15, v6, v12
	v_add_f32_e32 v16, v13, v7
	v_sub_f32_e32 v17, v6, v12
	v_sub_f32_e32 v7, v7, v13
	v_mul_lo_u16 v12, 0xcd, v14
	v_add_nc_u32_e32 v6, 0x800, v0
	s_waitcnt vmcnt(0)
	v_fma_f32 v18, v17, v10, v15
	v_fma_f32 v13, v16, v10, v7
	v_fma_f32 v14, -v17, v10, v15
	v_fma_f32 v15, v16, v10, -v7
	v_lshrrev_b16 v38, 11, v12
	v_fma_f32 v12, -v9, v16, v18
	v_fmac_f32_e32 v13, v17, v9
	v_fmac_f32_e32 v14, v9, v16
	;; [unrolled: 1-line block ×3, first 2 shown]
	v_add_nc_u32_e32 v9, 0x1000, v0
	v_add_nc_u32_e32 v7, 0x1800, v0
	ds_write_b64 v0, v[12:13] offset:3200
	ds_write_b64 v11, v[14:15] offset:4800
	s_waitcnt lgkmcnt(0)
	s_barrier
	buffer_gl0_inv
	s_barrier
	buffer_gl0_inv
	ds_read2_b64 v[10:13], v0 offset1:100
	ds_read2_b64 v[14:17], v8 offset0:72 offset1:172
	ds_read2_b64 v[18:21], v6 offset0:144 offset1:244
	;; [unrolled: 1-line block ×4, first 2 shown]
	v_mul_lo_u16 v30, v38, 10
	s_waitcnt lgkmcnt(0)
	s_barrier
	buffer_gl0_inv
	v_sub_nc_u16 v39, v5, v30
	v_mul_u32_u24_sdwa v30, v39, v31 dst_sel:DWORD dst_unused:UNUSED_PAD src0_sel:BYTE_0 src1_sel:DWORD
	v_mad_u32_u24 v31, 0x48, v5, v0
	v_lshlrev_b32_e32 v30, 3, v30
	v_add_f32_e32 v32, v10, v14
	v_add_f32_e32 v43, v11, v15
	;; [unrolled: 1-line block ×3, first 2 shown]
	v_sub_f32_e32 v34, v15, v27
	v_add_f32_e32 v40, v14, v26
	v_add_f32_e32 v44, v19, v23
	v_sub_f32_e32 v46, v15, v19
	v_add_f32_e32 v48, v15, v27
	v_sub_f32_e32 v15, v19, v15
	v_sub_f32_e32 v49, v23, v27
	v_add_f32_e32 v50, v12, v16
	v_add_f32_e32 v51, v20, v24
	;; [unrolled: 1-line block ×4, first 2 shown]
	v_sub_f32_e32 v36, v14, v18
	v_sub_f32_e32 v37, v26, v22
	v_add_f32_e32 v59, v17, v29
	v_sub_f32_e32 v35, v19, v23
	v_sub_f32_e32 v41, v18, v14
	;; [unrolled: 1-line block ×8, first 2 shown]
	v_add_f32_e32 v55, v16, v28
	v_sub_f32_e32 v56, v20, v16
	v_sub_f32_e32 v16, v16, v28
	;; [unrolled: 1-line block ×4, first 2 shown]
	v_add_f32_e32 v18, v32, v18
	v_fma_f32 v32, -0.5, v33, v10
	v_fma_f32 v33, -0.5, v40, v10
	v_add_f32_e32 v10, v43, v19
	v_fma_f32 v40, -0.5, v44, v11
	v_fma_f32 v43, -0.5, v48, v11
	v_add_f32_e32 v11, v15, v49
	v_add_f32_e32 v15, v50, v20
	v_fma_f32 v19, -0.5, v51, v12
	v_add_f32_e32 v21, v57, v21
	v_fma_f32 v48, -0.5, v62, v13
	v_add_f32_e32 v36, v36, v37
	v_sub_f32_e32 v37, v20, v24
	v_fmac_f32_e32 v13, -0.5, v59
	v_sub_f32_e32 v60, v28, v24
	v_sub_f32_e32 v61, v24, v28
	v_add_f32_e32 v41, v41, v42
	v_sub_f32_e32 v42, v29, v25
	v_add_f32_e32 v46, v46, v47
	v_sub_f32_e32 v47, v25, v29
	v_add_f32_e32 v15, v15, v24
	v_fmamk_f32 v24, v52, 0xbf737871, v19
	v_add_f32_e32 v21, v21, v25
	v_fmamk_f32 v25, v16, 0x3f737871, v48
	v_fma_f32 v12, -0.5, v55, v12
	v_fmamk_f32 v51, v37, 0xbf737871, v13
	v_fmac_f32_e32 v13, 0x3f737871, v37
	v_fmac_f32_e32 v48, 0xbf737871, v16
	v_sub_f32_e32 v14, v14, v26
	v_add_f32_e32 v20, v54, v60
	v_add_f32_e32 v42, v58, v42
	;; [unrolled: 1-line block ×4, first 2 shown]
	v_fmamk_f32 v49, v45, 0xbf737871, v43
	v_fmac_f32_e32 v43, 0x3f737871, v45
	v_fmac_f32_e32 v24, 0xbf167918, v53
	;; [unrolled: 1-line block ×3, first 2 shown]
	v_add_f32_e32 v17, v17, v47
	v_fmamk_f32 v22, v34, 0xbf737871, v32
	v_fmac_f32_e32 v32, 0x3f737871, v34
	v_fmamk_f32 v50, v53, 0x3f737871, v12
	v_fmac_f32_e32 v12, 0xbf737871, v53
	v_fmac_f32_e32 v51, 0x3f167918, v16
	v_fmac_f32_e32 v13, 0xbf167918, v16
	v_fmac_f32_e32 v19, 0x3f737871, v52
	v_fmac_f32_e32 v48, 0xbf167918, v37
	v_fmamk_f32 v47, v35, 0x3f737871, v33
	v_fmac_f32_e32 v33, 0xbf737871, v35
	v_fmamk_f32 v23, v14, 0x3f737871, v40
	v_fmac_f32_e32 v40, 0xbf737871, v14
	v_add_f32_e32 v18, v18, v26
	v_add_f32_e32 v26, v10, v27
	v_fmac_f32_e32 v49, 0x3f167918, v14
	v_fmac_f32_e32 v43, 0xbf167918, v14
	v_add_f32_e32 v14, v15, v28
	v_add_f32_e32 v15, v21, v29
	v_fmac_f32_e32 v24, 0x3e9e377a, v20
	v_fmac_f32_e32 v25, 0x3e9e377a, v42
	v_add_f32_e32 v44, v56, v61
	v_fmac_f32_e32 v22, 0xbf167918, v35
	v_fmac_f32_e32 v32, 0x3f167918, v35
	v_fmac_f32_e32 v50, 0xbf167918, v52
	v_fmac_f32_e32 v12, 0x3f167918, v52
	v_fmac_f32_e32 v51, 0x3e9e377a, v17
	v_fmac_f32_e32 v13, 0x3e9e377a, v17
	v_fmac_f32_e32 v19, 0x3f167918, v53
	v_fmac_f32_e32 v48, 0x3e9e377a, v42
	v_fmac_f32_e32 v47, 0xbf167918, v34
	v_fmac_f32_e32 v33, 0x3f167918, v34
	v_fmac_f32_e32 v23, 0x3f167918, v45
	v_fmac_f32_e32 v49, 0x3e9e377a, v11
	v_fmac_f32_e32 v43, 0x3e9e377a, v11
	v_add_f32_e32 v11, v26, v15
	v_sub_f32_e32 v15, v26, v15
	v_mul_f32_e32 v26, 0xbf167918, v25
	v_mul_f32_e32 v34, 0x3f167918, v24
	v_fmac_f32_e32 v22, 0x3e9e377a, v36
	v_fmac_f32_e32 v32, 0x3e9e377a, v36
	;; [unrolled: 1-line block ×4, first 2 shown]
	v_mul_f32_e32 v27, 0xbf737871, v51
	v_mul_f32_e32 v28, 0xbf737871, v13
	;; [unrolled: 1-line block ×4, first 2 shown]
	v_fmac_f32_e32 v40, 0xbf167918, v45
	v_fmac_f32_e32 v19, 0x3e9e377a, v20
	v_mul_f32_e32 v29, 0xbf167918, v48
	v_mul_f32_e32 v37, 0xbf4f1bbd, v48
	v_fmac_f32_e32 v23, 0x3e9e377a, v46
	v_fmac_f32_e32 v26, 0x3f4f1bbd, v24
	v_fmac_f32_e32 v34, 0x3f4f1bbd, v25
	v_fmac_f32_e32 v47, 0x3e9e377a, v41
	v_fmac_f32_e32 v33, 0x3e9e377a, v41
	v_fmac_f32_e32 v27, 0x3e9e377a, v50
	v_fmac_f32_e32 v28, 0xbe9e377a, v12
	v_fmac_f32_e32 v35, 0x3f737871, v50
	v_fmac_f32_e32 v36, 0x3f737871, v12
	v_fmac_f32_e32 v40, 0x3e9e377a, v46
	v_fmac_f32_e32 v29, 0xbf4f1bbd, v19
	v_fmac_f32_e32 v37, 0x3f167918, v19
	v_add_f32_e32 v10, v18, v14
	v_add_f32_e32 v12, v22, v26
	;; [unrolled: 1-line block ×3, first 2 shown]
	v_sub_f32_e32 v14, v18, v14
	v_add_f32_e32 v16, v47, v27
	v_add_f32_e32 v18, v33, v28
	;; [unrolled: 1-line block ×6, first 2 shown]
	v_sub_f32_e32 v22, v22, v26
	v_sub_f32_e32 v24, v47, v27
	;; [unrolled: 1-line block ×8, first 2 shown]
	ds_write2_b64 v31, v[10:11], v[12:13] offset1:1
	ds_write2_b64 v31, v[16:17], v[18:19] offset0:2 offset1:3
	ds_write2_b64 v31, v[20:21], v[14:15] offset0:4 offset1:5
	;; [unrolled: 1-line block ×4, first 2 shown]
	s_waitcnt lgkmcnt(0)
	s_barrier
	buffer_gl0_inv
	s_clause 0x4
	global_load_dwordx4 v[10:13], v30, s[12:13]
	global_load_dwordx4 v[14:17], v30, s[12:13] offset:16
	global_load_dwordx4 v[18:21], v30, s[12:13] offset:32
	;; [unrolled: 1-line block ×3, first 2 shown]
	global_load_dwordx2 v[46:47], v30, s[12:13] offset:64
	v_mov_b32_e32 v40, 0x320
	v_mov_b32_e32 v41, 3
	ds_read2_b64 v[26:29], v0 offset1:100
	ds_read2_b64 v[30:33], v8 offset0:72 offset1:172
	v_mul_u32_u24_e32 v42, 9, v5
	ds_read2_b64 v[34:37], v6 offset0:144 offset1:244
	v_mul_u32_u24_sdwa v43, v38, v40 dst_sel:DWORD dst_unused:UNUSED_PAD src0_sel:WORD_0 src1_sel:DWORD
	v_lshlrev_b32_sdwa v44, v41, v39 dst_sel:DWORD dst_unused:UNUSED_PAD src0_sel:DWORD src1_sel:BYTE_0
	ds_read2_b64 v[38:41], v9 offset0:88 offset1:188
	v_lshlrev_b32_e32 v48, 3, v42
	v_add3_u32 v49, 0, v43, v44
	ds_read2_b64 v[42:45], v7 offset0:32 offset1:132
	s_waitcnt vmcnt(0) lgkmcnt(0)
	s_barrier
	buffer_gl0_inv
	v_mul_f32_e32 v50, v11, v29
	v_mul_f32_e32 v11, v11, v28
	;; [unrolled: 1-line block ×8, first 2 shown]
	v_fmac_f32_e32 v50, v10, v28
	v_fma_f32 v28, v10, v29, -v11
	v_fmac_f32_e32 v51, v12, v30
	v_fma_f32 v10, v12, v31, -v13
	v_mul_f32_e32 v12, v43, v25
	v_mul_f32_e32 v17, v17, v34
	;; [unrolled: 1-line block ×7, first 2 shown]
	v_fmac_f32_e32 v52, v14, v32
	v_fma_f32 v14, v14, v33, -v15
	v_mul_f32_e32 v15, v44, v47
	v_fmac_f32_e32 v53, v16, v34
	v_fmac_f32_e32 v55, v38, v20
	;; [unrolled: 1-line block ×3, first 2 shown]
	v_mul_f32_e32 v56, v41, v23
	v_mul_f32_e32 v23, v45, v47
	v_fma_f32 v16, v16, v35, -v17
	v_fmac_f32_e32 v54, v18, v36
	v_fma_f32 v17, v18, v37, -v19
	v_fma_f32 v18, v39, v20, -v21
	;; [unrolled: 1-line block ×5, first 2 shown]
	v_sub_f32_e32 v24, v51, v53
	v_sub_f32_e32 v25, v12, v55
	v_fmac_f32_e32 v56, v40, v22
	v_fmac_f32_e32 v23, v44, v46
	v_add_f32_e32 v20, v53, v55
	v_add_f32_e32 v29, v51, v12
	;; [unrolled: 1-line block ×9, first 2 shown]
	v_sub_f32_e32 v30, v53, v51
	v_sub_f32_e32 v31, v55, v12
	v_add_f32_e32 v32, v27, v10
	v_add_f32_e32 v40, v50, v52
	;; [unrolled: 1-line block ×3, first 2 shown]
	v_sub_f32_e32 v42, v14, v15
	v_sub_f32_e32 v43, v17, v11
	;; [unrolled: 1-line block ×3, first 2 shown]
	v_add_f32_e32 v46, v52, v23
	v_sub_f32_e32 v47, v54, v52
	v_sub_f32_e32 v52, v52, v23
	;; [unrolled: 1-line block ×4, first 2 shown]
	v_fma_f32 v61, -0.5, v20, v26
	v_fma_f32 v26, -0.5, v29, v26
	;; [unrolled: 1-line block ×4, first 2 shown]
	v_add_f32_e32 v17, v57, v17
	v_fma_f32 v38, -0.5, v58, v28
	v_sub_f32_e32 v36, v10, v16
	v_sub_f32_e32 v37, v13, v18
	;; [unrolled: 1-line block ×4, first 2 shown]
	v_fmac_f32_e32 v28, -0.5, v25
	v_sub_f32_e32 v21, v10, v13
	v_sub_f32_e32 v22, v16, v18
	;; [unrolled: 1-line block ×5, first 2 shown]
	v_add_f32_e32 v19, v19, v53
	v_sub_f32_e32 v53, v15, v11
	v_add_f32_e32 v30, v30, v31
	v_sub_f32_e32 v31, v11, v15
	v_add_f32_e32 v16, v32, v16
	v_add_f32_e32 v32, v40, v54
	v_fma_f32 v33, -0.5, v41, v50
	v_add_f32_e32 v11, v17, v11
	v_fmamk_f32 v17, v52, 0x3f737871, v38
	v_add_f32_e32 v20, v36, v37
	v_add_f32_e32 v36, v44, v45
	v_fmac_f32_e32 v50, -0.5, v46
	v_fmamk_f32 v45, v59, 0xbf737871, v28
	v_fmac_f32_e32 v28, 0x3f737871, v59
	v_fmac_f32_e32 v38, 0xbf737871, v52
	v_sub_f32_e32 v34, v51, v12
	v_add_f32_e32 v10, v10, v39
	v_add_f32_e32 v39, v60, v53
	;; [unrolled: 1-line block ×4, first 2 shown]
	v_fmamk_f32 v32, v42, 0xbf737871, v33
	v_fmac_f32_e32 v17, 0x3f167918, v59
	v_sub_f32_e32 v51, v56, v23
	v_add_f32_e32 v14, v14, v31
	v_fmamk_f32 v31, v22, 0x3f737871, v26
	v_fmac_f32_e32 v26, 0xbf737871, v22
	v_fmac_f32_e32 v33, 0x3f737871, v42
	v_fmamk_f32 v44, v43, 0x3f737871, v50
	v_fmac_f32_e32 v50, 0xbf737871, v43
	v_fmac_f32_e32 v45, 0x3f167918, v52
	;; [unrolled: 1-line block ×4, first 2 shown]
	v_fmamk_f32 v25, v21, 0xbf737871, v61
	v_fmac_f32_e32 v61, 0x3f737871, v21
	v_fmamk_f32 v40, v34, 0x3f737871, v29
	v_fmac_f32_e32 v29, 0xbf737871, v34
	v_fmac_f32_e32 v32, 0xbf167918, v43
	;; [unrolled: 1-line block ×3, first 2 shown]
	v_add_f32_e32 v37, v47, v51
	v_fmamk_f32 v41, v35, 0xbf737871, v27
	v_fmac_f32_e32 v27, 0x3f737871, v35
	v_fmac_f32_e32 v31, 0xbf167918, v21
	;; [unrolled: 1-line block ×9, first 2 shown]
	v_add_f32_e32 v19, v19, v55
	v_fmac_f32_e32 v25, 0xbf167918, v22
	v_fmac_f32_e32 v61, 0x3f167918, v22
	;; [unrolled: 1-line block ×5, first 2 shown]
	v_mul_f32_e32 v22, 0xbf167918, v17
	v_mul_f32_e32 v35, 0x3f4f1bbd, v17
	v_add_f32_e32 v13, v16, v13
	v_fmac_f32_e32 v41, 0x3f167918, v34
	v_fmac_f32_e32 v27, 0xbf167918, v34
	v_add_f32_e32 v16, v18, v23
	v_fmac_f32_e32 v31, 0x3e9e377a, v30
	v_fmac_f32_e32 v26, 0x3e9e377a, v30
	;; [unrolled: 1-line block ×5, first 2 shown]
	v_mul_f32_e32 v23, 0xbf737871, v45
	v_mul_f32_e32 v30, 0xbf737871, v28
	;; [unrolled: 1-line block ×6, first 2 shown]
	v_add_f32_e32 v12, v19, v12
	v_add_f32_e32 v15, v11, v15
	v_fmac_f32_e32 v25, 0x3e9e377a, v24
	v_fmac_f32_e32 v40, 0x3e9e377a, v20
	;; [unrolled: 1-line block ×14, first 2 shown]
	v_add_f32_e32 v10, v12, v16
	v_add_f32_e32 v11, v13, v15
	v_sub_f32_e32 v13, v13, v15
	v_add_f32_e32 v14, v25, v22
	v_add_f32_e32 v15, v40, v35
	v_sub_f32_e32 v12, v12, v16
	v_add_f32_e32 v16, v31, v23
	v_add_f32_e32 v18, v26, v30
	;; [unrolled: 1-line block ×6, first 2 shown]
	v_sub_f32_e32 v22, v25, v22
	v_sub_f32_e32 v24, v31, v23
	;; [unrolled: 1-line block ×8, first 2 shown]
	ds_write2_b64 v49, v[10:11], v[14:15] offset1:10
	ds_write2_b64 v49, v[16:17], v[18:19] offset0:20 offset1:30
	ds_write2_b64 v49, v[20:21], v[12:13] offset0:40 offset1:50
	ds_write2_b64 v49, v[22:23], v[24:25] offset0:60 offset1:70
	ds_write2_b64 v49, v[26:27], v[28:29] offset0:80 offset1:90
	s_waitcnt lgkmcnt(0)
	s_barrier
	buffer_gl0_inv
	s_clause 0x4
	global_load_dwordx4 v[10:13], v48, s[12:13] offset:720
	global_load_dwordx4 v[14:17], v48, s[12:13] offset:736
	;; [unrolled: 1-line block ×4, first 2 shown]
	global_load_dwordx2 v[46:47], v48, s[12:13] offset:784
	ds_read2_b64 v[26:29], v0 offset1:100
	ds_read2_b64 v[30:33], v8 offset0:72 offset1:172
	ds_read2_b64 v[34:37], v6 offset0:144 offset1:244
	;; [unrolled: 1-line block ×4, first 2 shown]
	s_waitcnt vmcnt(0) lgkmcnt(0)
	s_barrier
	buffer_gl0_inv
	v_mul_f32_e32 v48, v11, v29
	v_mul_f32_e32 v11, v11, v28
	;; [unrolled: 1-line block ×15, first 2 shown]
	v_fmac_f32_e32 v48, v10, v28
	v_fma_f32 v28, v10, v29, -v11
	v_mul_f32_e32 v11, v42, v25
	v_fma_f32 v10, v12, v31, -v13
	v_mul_f32_e32 v13, v44, v47
	v_fmac_f32_e32 v49, v12, v30
	v_mul_f32_e32 v12, v45, v47
	v_fmac_f32_e32 v50, v14, v32
	v_fma_f32 v14, v14, v33, -v15
	v_fmac_f32_e32 v51, v16, v34
	v_fma_f32 v15, v16, v35, -v17
	v_fmac_f32_e32 v52, v18, v36
	v_fma_f32 v16, v18, v37, -v19
	v_fmac_f32_e32 v53, v38, v20
	v_fma_f32 v17, v39, v20, -v21
	v_fma_f32 v18, v41, v22, -v23
	v_fmac_f32_e32 v55, v42, v24
	v_fma_f32 v11, v43, v24, -v11
	v_fma_f32 v13, v45, v46, -v13
	v_fmac_f32_e32 v54, v40, v22
	v_fmac_f32_e32 v12, v44, v46
	v_add_f32_e32 v19, v26, v49
	v_add_f32_e32 v20, v51, v53
	v_sub_f32_e32 v23, v49, v51
	v_sub_f32_e32 v24, v55, v53
	v_add_f32_e32 v25, v49, v55
	v_sub_f32_e32 v29, v51, v49
	v_sub_f32_e32 v33, v49, v55
	;; [unrolled: 1-line block ×4, first 2 shown]
	v_add_f32_e32 v49, v28, v14
	v_add_f32_e32 v56, v16, v18
	;; [unrolled: 1-line block ×3, first 2 shown]
	v_sub_f32_e32 v30, v53, v55
	v_add_f32_e32 v31, v27, v10
	v_add_f32_e32 v39, v48, v50
	;; [unrolled: 1-line block ×3, first 2 shown]
	v_sub_f32_e32 v41, v14, v13
	v_sub_f32_e32 v42, v16, v18
	;; [unrolled: 1-line block ×3, first 2 shown]
	v_add_f32_e32 v45, v50, v12
	v_sub_f32_e32 v46, v52, v50
	v_sub_f32_e32 v50, v50, v12
	;; [unrolled: 1-line block ×4, first 2 shown]
	v_fma_f32 v61, -0.5, v20, v26
	v_add_f32_e32 v20, v23, v24
	v_fma_f32 v23, -0.5, v25, v26
	v_add_f32_e32 v25, v35, v36
	v_add_f32_e32 v16, v49, v16
	v_fma_f32 v35, -0.5, v56, v28
	v_add_f32_e32 v32, v15, v17
	v_sub_f32_e32 v44, v12, v54
	v_sub_f32_e32 v57, v52, v54
	v_fmac_f32_e32 v28, -0.5, v60
	v_sub_f32_e32 v21, v10, v11
	v_sub_f32_e32 v22, v15, v17
	;; [unrolled: 1-line block ×3, first 2 shown]
	v_add_f32_e32 v37, v10, v11
	v_sub_f32_e32 v10, v15, v10
	v_sub_f32_e32 v59, v13, v18
	v_add_f32_e32 v19, v19, v51
	v_sub_f32_e32 v51, v18, v13
	v_add_f32_e32 v24, v29, v30
	v_add_f32_e32 v15, v31, v15
	;; [unrolled: 1-line block ×3, first 2 shown]
	v_fma_f32 v30, -0.5, v40, v48
	v_fmac_f32_e32 v48, -0.5, v45
	v_add_f32_e32 v16, v16, v18
	v_fmamk_f32 v18, v50, 0x3f737871, v35
	v_sub_f32_e32 v38, v17, v11
	v_fma_f32 v29, -0.5, v32, v27
	v_add_f32_e32 v31, v43, v44
	v_fmamk_f32 v44, v57, 0xbf737871, v28
	v_fmac_f32_e32 v28, 0x3f737871, v57
	v_fmac_f32_e32 v35, 0xbf737871, v50
	v_sub_f32_e32 v47, v54, v12
	v_add_f32_e32 v36, v58, v59
	v_add_f32_e32 v15, v15, v17
	;; [unrolled: 1-line block ×3, first 2 shown]
	v_fmamk_f32 v26, v41, 0xbf737871, v30
	v_fmamk_f32 v43, v42, 0x3f737871, v48
	v_fmac_f32_e32 v48, 0xbf737871, v42
	v_fmac_f32_e32 v18, 0x3f167918, v57
	v_fma_f32 v27, -0.5, v37, v27
	v_add_f32_e32 v10, v10, v38
	v_add_f32_e32 v14, v14, v51
	v_fmamk_f32 v38, v22, 0x3f737871, v23
	v_fmac_f32_e32 v23, 0xbf737871, v22
	v_fmamk_f32 v39, v33, 0x3f737871, v29
	v_fmac_f32_e32 v29, 0xbf737871, v33
	v_fmac_f32_e32 v44, 0x3f167918, v50
	;; [unrolled: 1-line block ×5, first 2 shown]
	v_add_f32_e32 v32, v46, v47
	v_fmamk_f32 v37, v21, 0xbf737871, v61
	v_fmac_f32_e32 v61, 0x3f737871, v21
	v_fmac_f32_e32 v26, 0xbf167918, v42
	;; [unrolled: 1-line block ×5, first 2 shown]
	v_fmamk_f32 v40, v34, 0xbf737871, v27
	v_fmac_f32_e32 v27, 0x3f737871, v34
	v_fmac_f32_e32 v38, 0xbf167918, v21
	;; [unrolled: 1-line block ×9, first 2 shown]
	v_add_f32_e32 v19, v19, v53
	v_fmac_f32_e32 v37, 0xbf167918, v22
	v_fmac_f32_e32 v61, 0x3f167918, v22
	;; [unrolled: 1-line block ×5, first 2 shown]
	v_mul_f32_e32 v22, 0xbf167918, v18
	v_mul_f32_e32 v32, 0x3f4f1bbd, v18
	v_fmac_f32_e32 v40, 0x3f167918, v33
	v_fmac_f32_e32 v27, 0xbf167918, v33
	v_fmac_f32_e32 v38, 0x3e9e377a, v24
	v_fmac_f32_e32 v23, 0x3e9e377a, v24
	v_fmac_f32_e32 v39, 0x3e9e377a, v25
	v_fmac_f32_e32 v29, 0x3e9e377a, v25
	v_mul_f32_e32 v24, 0xbf737871, v44
	v_mul_f32_e32 v25, 0xbf737871, v28
	;; [unrolled: 1-line block ×4, first 2 shown]
	v_fmac_f32_e32 v30, 0x3e9e377a, v31
	v_mul_f32_e32 v31, 0xbf167918, v35
	v_mul_f32_e32 v35, 0xbf4f1bbd, v35
	v_add_f32_e32 v19, v19, v55
	v_add_f32_e32 v15, v15, v11
	;; [unrolled: 1-line block ×4, first 2 shown]
	v_fmac_f32_e32 v37, 0x3e9e377a, v20
	v_fmac_f32_e32 v22, 0x3f4f1bbd, v26
	;; [unrolled: 1-line block ×12, first 2 shown]
	v_add_f32_e32 v10, v19, v12
	v_add_f32_e32 v11, v15, v13
	v_sub_f32_e32 v13, v15, v13
	v_add_f32_e32 v14, v37, v22
	v_add_f32_e32 v15, v39, v32
	v_sub_f32_e32 v12, v19, v12
	v_add_f32_e32 v16, v38, v24
	v_add_f32_e32 v18, v23, v25
	;; [unrolled: 1-line block ×6, first 2 shown]
	v_sub_f32_e32 v22, v37, v22
	v_sub_f32_e32 v24, v38, v24
	;; [unrolled: 1-line block ×8, first 2 shown]
	ds_write2_b64 v0, v[10:11], v[14:15] offset1:100
	ds_write2_b64 v8, v[16:17], v[18:19] offset0:72 offset1:172
	ds_write2_b64 v6, v[20:21], v[12:13] offset0:144 offset1:244
	;; [unrolled: 1-line block ×4, first 2 shown]
	s_waitcnt lgkmcnt(0)
	s_barrier
	buffer_gl0_inv
	s_and_saveexec_b32 s0, vcc_lo
	s_cbranch_execz .LBB0_21
; %bb.20:
	v_mul_lo_u32 v0, s3, v3
	v_mul_lo_u32 v6, s2, v4
	v_mad_u64_u32 v[3:4], null, s2, v3, 0
	v_lshl_add_u32 v23, v5, 3, 0
	v_lshlrev_b64 v[7:8], 3, v[1:2]
	v_add_nc_u32_e32 v11, 0x64, v5
	v_add_nc_u32_e32 v13, 0xc8, v5
	;; [unrolled: 1-line block ×4, first 2 shown]
	v_add3_u32 v4, v4, v6, v0
	v_mov_b32_e32 v6, 0
	v_add_nc_u32_e32 v21, 0x1f4, v5
	v_lshlrev_b64 v[9:10], 3, v[3:4]
	ds_read2_b64 v[0:3], v23 offset1:100
	v_mov_b32_e32 v14, v6
	v_mov_b32_e32 v16, v6
	;; [unrolled: 1-line block ×4, first 2 shown]
	v_add_co_u32 v4, vcc_lo, s10, v9
	v_add_co_ci_u32_e32 v12, vcc_lo, s11, v10, vcc_lo
	v_lshlrev_b64 v[9:10], 3, v[5:6]
	v_add_co_u32 v24, vcc_lo, v4, v7
	v_add_co_ci_u32_e32 v25, vcc_lo, v12, v8, vcc_lo
	v_mov_b32_e32 v12, v6
	v_add_co_u32 v7, vcc_lo, v24, v9
	v_add_co_ci_u32_e32 v8, vcc_lo, v25, v10, vcc_lo
	v_lshlrev_b64 v[9:10], 3, v[11:12]
	v_add_nc_u32_e32 v4, 0x400, v23
	v_add_nc_u32_e32 v11, 0x800, v23
	s_waitcnt lgkmcnt(0)
	global_store_dwordx2 v[7:8], v[0:1], off
	v_lshlrev_b64 v[17:18], 3, v[13:14]
	v_lshlrev_b64 v[15:16], 3, v[15:16]
	v_add_co_u32 v0, vcc_lo, v24, v9
	v_add_co_ci_u32_e32 v1, vcc_lo, v25, v10, vcc_lo
	ds_read2_b64 v[7:10], v4 offset0:72 offset1:172
	ds_read2_b64 v[11:14], v11 offset0:144 offset1:244
	v_add_co_u32 v17, vcc_lo, v24, v17
	v_lshlrev_b64 v[19:20], 3, v[19:20]
	v_add_co_ci_u32_e32 v18, vcc_lo, v25, v18, vcc_lo
	v_add_co_u32 v15, vcc_lo, v24, v15
	v_add_co_ci_u32_e32 v16, vcc_lo, v25, v16, vcc_lo
	v_add_co_u32 v19, vcc_lo, v24, v19
	v_add_co_ci_u32_e32 v20, vcc_lo, v25, v20, vcc_lo
	global_store_dwordx2 v[0:1], v[2:3], off
	s_waitcnt lgkmcnt(1)
	global_store_dwordx2 v[17:18], v[7:8], off
	global_store_dwordx2 v[15:16], v[9:10], off
	s_waitcnt lgkmcnt(0)
	global_store_dwordx2 v[19:20], v[11:12], off
	v_lshlrev_b64 v[0:1], 3, v[21:22]
	v_add_nc_u32_e32 v2, 0x1000, v23
	v_add_nc_u32_e32 v7, 0x258, v5
	v_mov_b32_e32 v8, v6
	v_add_nc_u32_e32 v9, 0x2bc, v5
	v_mov_b32_e32 v10, v6
	v_add_nc_u32_e32 v4, 0x1800, v23
	v_add_co_u32 v11, vcc_lo, v24, v0
	v_add_co_ci_u32_e32 v12, vcc_lo, v25, v1, vcc_lo
	ds_read2_b64 v[0:3], v2 offset0:88 offset1:188
	v_lshlrev_b64 v[15:16], 3, v[7:8]
	v_lshlrev_b64 v[17:18], 3, v[9:10]
	v_add_nc_u32_e32 v19, 0x320, v5
	v_mov_b32_e32 v20, v6
	ds_read2_b64 v[7:10], v4 offset0:32 offset1:132
	v_add_nc_u32_e32 v5, 0x384, v5
	v_add_co_u32 v15, vcc_lo, v24, v15
	v_lshlrev_b64 v[19:20], 3, v[19:20]
	v_add_co_ci_u32_e32 v16, vcc_lo, v25, v16, vcc_lo
	v_add_co_u32 v17, vcc_lo, v24, v17
	v_lshlrev_b64 v[4:5], 3, v[5:6]
	v_add_co_ci_u32_e32 v18, vcc_lo, v25, v18, vcc_lo
	v_add_co_u32 v19, vcc_lo, v24, v19
	v_add_co_ci_u32_e32 v20, vcc_lo, v25, v20, vcc_lo
	v_add_co_u32 v4, vcc_lo, v24, v4
	v_add_co_ci_u32_e32 v5, vcc_lo, v25, v5, vcc_lo
	global_store_dwordx2 v[11:12], v[13:14], off
	s_waitcnt lgkmcnt(1)
	global_store_dwordx2 v[15:16], v[0:1], off
	global_store_dwordx2 v[17:18], v[2:3], off
	s_waitcnt lgkmcnt(0)
	global_store_dwordx2 v[19:20], v[7:8], off
	global_store_dwordx2 v[4:5], v[9:10], off
.LBB0_21:
	s_endpgm
	.section	.rodata,"a",@progbits
	.p2align	6, 0x0
	.amdhsa_kernel fft_rtc_back_len1000_factors_10_10_10_wgs_100_tpt_100_halfLds_sp_op_CI_CI_unitstride_sbrr_C2R_dirReg
		.amdhsa_group_segment_fixed_size 0
		.amdhsa_private_segment_fixed_size 0
		.amdhsa_kernarg_size 104
		.amdhsa_user_sgpr_count 6
		.amdhsa_user_sgpr_private_segment_buffer 1
		.amdhsa_user_sgpr_dispatch_ptr 0
		.amdhsa_user_sgpr_queue_ptr 0
		.amdhsa_user_sgpr_kernarg_segment_ptr 1
		.amdhsa_user_sgpr_dispatch_id 0
		.amdhsa_user_sgpr_flat_scratch_init 0
		.amdhsa_user_sgpr_private_segment_size 0
		.amdhsa_wavefront_size32 1
		.amdhsa_uses_dynamic_stack 0
		.amdhsa_system_sgpr_private_segment_wavefront_offset 0
		.amdhsa_system_sgpr_workgroup_id_x 1
		.amdhsa_system_sgpr_workgroup_id_y 0
		.amdhsa_system_sgpr_workgroup_id_z 0
		.amdhsa_system_sgpr_workgroup_info 0
		.amdhsa_system_vgpr_workitem_id 0
		.amdhsa_next_free_vgpr 63
		.amdhsa_next_free_sgpr 27
		.amdhsa_reserve_vcc 1
		.amdhsa_reserve_flat_scratch 0
		.amdhsa_float_round_mode_32 0
		.amdhsa_float_round_mode_16_64 0
		.amdhsa_float_denorm_mode_32 3
		.amdhsa_float_denorm_mode_16_64 3
		.amdhsa_dx10_clamp 1
		.amdhsa_ieee_mode 1
		.amdhsa_fp16_overflow 0
		.amdhsa_workgroup_processor_mode 1
		.amdhsa_memory_ordered 1
		.amdhsa_forward_progress 0
		.amdhsa_shared_vgpr_count 0
		.amdhsa_exception_fp_ieee_invalid_op 0
		.amdhsa_exception_fp_denorm_src 0
		.amdhsa_exception_fp_ieee_div_zero 0
		.amdhsa_exception_fp_ieee_overflow 0
		.amdhsa_exception_fp_ieee_underflow 0
		.amdhsa_exception_fp_ieee_inexact 0
		.amdhsa_exception_int_div_zero 0
	.end_amdhsa_kernel
	.text
.Lfunc_end0:
	.size	fft_rtc_back_len1000_factors_10_10_10_wgs_100_tpt_100_halfLds_sp_op_CI_CI_unitstride_sbrr_C2R_dirReg, .Lfunc_end0-fft_rtc_back_len1000_factors_10_10_10_wgs_100_tpt_100_halfLds_sp_op_CI_CI_unitstride_sbrr_C2R_dirReg
                                        ; -- End function
	.section	.AMDGPU.csdata,"",@progbits
; Kernel info:
; codeLenInByte = 6604
; NumSgprs: 29
; NumVgprs: 63
; ScratchSize: 0
; MemoryBound: 0
; FloatMode: 240
; IeeeMode: 1
; LDSByteSize: 0 bytes/workgroup (compile time only)
; SGPRBlocks: 3
; VGPRBlocks: 7
; NumSGPRsForWavesPerEU: 29
; NumVGPRsForWavesPerEU: 63
; Occupancy: 16
; WaveLimiterHint : 1
; COMPUTE_PGM_RSRC2:SCRATCH_EN: 0
; COMPUTE_PGM_RSRC2:USER_SGPR: 6
; COMPUTE_PGM_RSRC2:TRAP_HANDLER: 0
; COMPUTE_PGM_RSRC2:TGID_X_EN: 1
; COMPUTE_PGM_RSRC2:TGID_Y_EN: 0
; COMPUTE_PGM_RSRC2:TGID_Z_EN: 0
; COMPUTE_PGM_RSRC2:TIDIG_COMP_CNT: 0
	.text
	.p2alignl 6, 3214868480
	.fill 48, 4, 3214868480
	.type	__hip_cuid_e463ad21f3b692e7,@object ; @__hip_cuid_e463ad21f3b692e7
	.section	.bss,"aw",@nobits
	.globl	__hip_cuid_e463ad21f3b692e7
__hip_cuid_e463ad21f3b692e7:
	.byte	0                               ; 0x0
	.size	__hip_cuid_e463ad21f3b692e7, 1

	.ident	"AMD clang version 19.0.0git (https://github.com/RadeonOpenCompute/llvm-project roc-6.4.0 25133 c7fe45cf4b819c5991fe208aaa96edf142730f1d)"
	.section	".note.GNU-stack","",@progbits
	.addrsig
	.addrsig_sym __hip_cuid_e463ad21f3b692e7
	.amdgpu_metadata
---
amdhsa.kernels:
  - .args:
      - .actual_access:  read_only
        .address_space:  global
        .offset:         0
        .size:           8
        .value_kind:     global_buffer
      - .offset:         8
        .size:           8
        .value_kind:     by_value
      - .actual_access:  read_only
        .address_space:  global
        .offset:         16
        .size:           8
        .value_kind:     global_buffer
      - .actual_access:  read_only
        .address_space:  global
        .offset:         24
        .size:           8
        .value_kind:     global_buffer
      - .actual_access:  read_only
        .address_space:  global
        .offset:         32
        .size:           8
        .value_kind:     global_buffer
      - .offset:         40
        .size:           8
        .value_kind:     by_value
      - .actual_access:  read_only
        .address_space:  global
        .offset:         48
        .size:           8
        .value_kind:     global_buffer
      - .actual_access:  read_only
        .address_space:  global
        .offset:         56
        .size:           8
        .value_kind:     global_buffer
      - .offset:         64
        .size:           4
        .value_kind:     by_value
      - .actual_access:  read_only
        .address_space:  global
        .offset:         72
        .size:           8
        .value_kind:     global_buffer
      - .actual_access:  read_only
        .address_space:  global
        .offset:         80
        .size:           8
        .value_kind:     global_buffer
      - .actual_access:  read_only
        .address_space:  global
        .offset:         88
        .size:           8
        .value_kind:     global_buffer
      - .actual_access:  write_only
        .address_space:  global
        .offset:         96
        .size:           8
        .value_kind:     global_buffer
    .group_segment_fixed_size: 0
    .kernarg_segment_align: 8
    .kernarg_segment_size: 104
    .language:       OpenCL C
    .language_version:
      - 2
      - 0
    .max_flat_workgroup_size: 100
    .name:           fft_rtc_back_len1000_factors_10_10_10_wgs_100_tpt_100_halfLds_sp_op_CI_CI_unitstride_sbrr_C2R_dirReg
    .private_segment_fixed_size: 0
    .sgpr_count:     29
    .sgpr_spill_count: 0
    .symbol:         fft_rtc_back_len1000_factors_10_10_10_wgs_100_tpt_100_halfLds_sp_op_CI_CI_unitstride_sbrr_C2R_dirReg.kd
    .uniform_work_group_size: 1
    .uses_dynamic_stack: false
    .vgpr_count:     63
    .vgpr_spill_count: 0
    .wavefront_size: 32
    .workgroup_processor_mode: 1
amdhsa.target:   amdgcn-amd-amdhsa--gfx1030
amdhsa.version:
  - 1
  - 2
...

	.end_amdgpu_metadata
